;; amdgpu-corpus repo=amd/amd-lab-notes kind=compiled arch=gfx90a opt=O3
	.text
	.amdgcn_target "amdgcn-amd-amdhsa--gfx90a"
	.amdhsa_code_object_version 6
	.protected	_Z20sgemm_32x32x32_batchPKDF16_S0_Pf ; -- Begin function _Z20sgemm_32x32x32_batchPKDF16_S0_Pf
	.globl	_Z20sgemm_32x32x32_batchPKDF16_S0_Pf
	.p2align	8
	.type	_Z20sgemm_32x32x32_batchPKDF16_S0_Pf,@function
_Z20sgemm_32x32x32_batchPKDF16_S0_Pf:   ; @_Z20sgemm_32x32x32_batchPKDF16_S0_Pf
; %bb.0:
	s_load_dwordx4 s[0:3], s[4:5], 0x0
	s_load_dwordx2 s[6:7], s[4:5], 0x10
	v_and_b32_e32 v42, 0x3ff, v0
	v_bfe_u32 v43, v0, 10, 10
	v_lshlrev_b32_e32 v1, 5, v42
	v_lshlrev_b32_e32 v0, 10, v43
	v_or_b32_e32 v2, v0, v42
	v_add_lshl_u32 v44, v0, v1, 1
	v_lshlrev_b32_e32 v45, 1, v2
	s_waitcnt lgkmcnt(0)
	global_load_dwordx4 v[30:33], v44, s[0:1]
	global_load_ushort v0, v45, s[2:3] offset:128
	global_load_ushort v1, v45, s[2:3] offset:192
	global_load_ushort v2, v45, s[2:3]
	global_load_ushort v3, v45, s[2:3] offset:64
	global_load_ushort v38, v45, s[2:3] offset:384
	;; [unrolled: 1-line block ×5, first 2 shown]
	global_load_dwordx4 v[34:37], v44, s[0:1] offset:16
	global_load_ushort v46, v45, s[2:3] offset:640
	global_load_ushort v47, v45, s[2:3] offset:704
	s_mov_b32 s4, 0x5040100
	global_load_ushort v48, v45, s[2:3] offset:512
	global_load_ushort v49, v45, s[2:3] offset:576
	;; [unrolled: 1-line block ×4, first 2 shown]
	s_waitcnt vmcnt(13)
	v_perm_b32 v1, v1, v0, s4
	s_waitcnt vmcnt(11)
	v_perm_b32 v0, v3, v2, s4
	;; [unrolled: 2-line block ×3, first 2 shown]
	v_mfma_f32_32x32x4f16 v[0:31], v[30:31], v[0:1], 0
	s_waitcnt vmcnt(7)
	v_perm_b32 v38, v41, v40, s4
	s_nop 1
	v_mfma_f32_32x32x4f16 v[0:31], v[32:33], v[38:39], v[0:31]
	global_load_ushort v52, v45, s[2:3] offset:768
	global_load_ushort v53, v45, s[2:3] offset:832
	global_load_dwordx4 v[38:41], v44, s[0:1] offset:32
	global_load_ushort v54, v45, s[2:3] offset:1152
	global_load_ushort v55, v45, s[2:3] offset:1216
	s_waitcnt vmcnt(9)
	v_perm_b32 v33, v47, v46, s4
	s_waitcnt vmcnt(7)
	v_perm_b32 v32, v49, v48, s4
	global_load_ushort v46, v45, s[2:3] offset:1024
	global_load_ushort v47, v45, s[2:3] offset:1088
	;; [unrolled: 1-line block ×4, first 2 shown]
	v_mfma_f32_32x32x4f16 v[0:31], v[34:35], v[32:33], v[0:31]
	s_waitcnt vmcnt(9)
	v_perm_b32 v33, v51, v50, s4
	s_waitcnt vmcnt(7)
	v_perm_b32 v32, v53, v52, s4
	s_nop 1
	v_mfma_f32_32x32x4f16 v[0:31], v[36:37], v[32:33], v[0:31]
	global_load_ushort v50, v45, s[2:3] offset:1280
	global_load_ushort v51, v45, s[2:3] offset:1344
	global_load_dwordx4 v[32:35], v44, s[0:1] offset:48
	global_load_ushort v52, v45, s[2:3] offset:1664
	global_load_ushort v53, v45, s[2:3] offset:1728
	s_waitcnt vmcnt(9)
	v_perm_b32 v37, v55, v54, s4
	s_waitcnt vmcnt(7)
	v_perm_b32 v36, v47, v46, s4
	s_movk_i32 s0, 0x1000
	s_nop 0
	v_mfma_f32_32x32x4f16 v[0:31], v[38:39], v[36:37], v[0:31]
	global_load_ushort v38, v45, s[2:3] offset:1536
	global_load_ushort v39, v45, s[2:3] offset:1600
	;; [unrolled: 1-line block ×4, first 2 shown]
	s_waitcnt vmcnt(9)
	v_perm_b32 v37, v49, v48, s4
	s_waitcnt vmcnt(7)
	v_perm_b32 v36, v51, v50, s4
	s_nop 1
	v_mfma_f32_32x32x4f16 v[0:31], v[40:41], v[36:37], v[0:31]
	global_load_ushort v40, v45, s[2:3] offset:1792
	global_load_ushort v41, v45, s[2:3] offset:1856
	s_waitcnt vmcnt(6)
	v_perm_b32 v37, v53, v52, s4
	s_waitcnt vmcnt(4)
	v_perm_b32 v36, v39, v38, s4
	s_nop 1
	v_mfma_f32_32x32x4f16 v[0:31], v[32:33], v[36:37], v[0:31]
	v_lshlrev_b32_e32 v32, 7, v43
	v_add_lshl_u32 v38, v32, v42, 2
	v_mov_b32_e32 v32, s7
	v_add_co_u32_e32 v33, vcc, s6, v38
	v_addc_co_u32_e32 v36, vcc, 0, v32, vcc
	v_add_co_u32_e32 v32, vcc, s0, v33
	v_addc_co_u32_e32 v33, vcc, 0, v36, vcc
	s_waitcnt vmcnt(2)
	v_perm_b32 v37, v46, v44, s4
	s_waitcnt vmcnt(0)
	v_perm_b32 v36, v41, v40, s4
	s_nop 1
	v_mfma_f32_32x32x4f16 v[0:31], v[34:35], v[36:37], v[0:31]
	s_nop 7
	s_nop 7
	;; [unrolled: 1-line block ×3, first 2 shown]
	global_store_dword v38, v0, s[6:7]
	global_store_dword v38, v1, s[6:7] offset:128
	global_store_dword v38, v2, s[6:7] offset:256
	;; [unrolled: 1-line block ×15, first 2 shown]
	global_store_dword v[32:33], v16, off
	global_store_dword v[32:33], v17, off offset:128
	global_store_dword v[32:33], v18, off offset:256
	;; [unrolled: 1-line block ×15, first 2 shown]
	s_endpgm
	.section	.rodata,"a",@progbits
	.p2align	6, 0x0
	.amdhsa_kernel _Z20sgemm_32x32x32_batchPKDF16_S0_Pf
		.amdhsa_group_segment_fixed_size 0
		.amdhsa_private_segment_fixed_size 0
		.amdhsa_kernarg_size 24
		.amdhsa_user_sgpr_count 6
		.amdhsa_user_sgpr_private_segment_buffer 1
		.amdhsa_user_sgpr_dispatch_ptr 0
		.amdhsa_user_sgpr_queue_ptr 0
		.amdhsa_user_sgpr_kernarg_segment_ptr 1
		.amdhsa_user_sgpr_dispatch_id 0
		.amdhsa_user_sgpr_flat_scratch_init 0
		.amdhsa_user_sgpr_kernarg_preload_length 0
		.amdhsa_user_sgpr_kernarg_preload_offset 0
		.amdhsa_user_sgpr_private_segment_size 0
		.amdhsa_uses_dynamic_stack 0
		.amdhsa_system_sgpr_private_segment_wavefront_offset 0
		.amdhsa_system_sgpr_workgroup_id_x 1
		.amdhsa_system_sgpr_workgroup_id_y 0
		.amdhsa_system_sgpr_workgroup_id_z 0
		.amdhsa_system_sgpr_workgroup_info 0
		.amdhsa_system_vgpr_workitem_id 1
		.amdhsa_next_free_vgpr 56
		.amdhsa_next_free_sgpr 8
		.amdhsa_accum_offset 56
		.amdhsa_reserve_vcc 1
		.amdhsa_reserve_flat_scratch 0
		.amdhsa_float_round_mode_32 0
		.amdhsa_float_round_mode_16_64 0
		.amdhsa_float_denorm_mode_32 3
		.amdhsa_float_denorm_mode_16_64 3
		.amdhsa_dx10_clamp 1
		.amdhsa_ieee_mode 1
		.amdhsa_fp16_overflow 0
		.amdhsa_tg_split 0
		.amdhsa_exception_fp_ieee_invalid_op 0
		.amdhsa_exception_fp_denorm_src 0
		.amdhsa_exception_fp_ieee_div_zero 0
		.amdhsa_exception_fp_ieee_overflow 0
		.amdhsa_exception_fp_ieee_underflow 0
		.amdhsa_exception_fp_ieee_inexact 0
		.amdhsa_exception_int_div_zero 0
	.end_amdhsa_kernel
	.text
.Lfunc_end0:
	.size	_Z20sgemm_32x32x32_batchPKDF16_S0_Pf, .Lfunc_end0-_Z20sgemm_32x32x32_batchPKDF16_S0_Pf
                                        ; -- End function
	.section	.AMDGPU.csdata,"",@progbits
; Kernel info:
; codeLenInByte = 944
; NumSgprs: 12
; NumVgprs: 56
; NumAgprs: 0
; TotalNumVgprs: 56
; ScratchSize: 0
; MemoryBound: 0
; FloatMode: 240
; IeeeMode: 1
; LDSByteSize: 0 bytes/workgroup (compile time only)
; SGPRBlocks: 1
; VGPRBlocks: 6
; NumSGPRsForWavesPerEU: 12
; NumVGPRsForWavesPerEU: 56
; AccumOffset: 56
; Occupancy: 8
; WaveLimiterHint : 1
; COMPUTE_PGM_RSRC2:SCRATCH_EN: 0
; COMPUTE_PGM_RSRC2:USER_SGPR: 6
; COMPUTE_PGM_RSRC2:TRAP_HANDLER: 0
; COMPUTE_PGM_RSRC2:TGID_X_EN: 1
; COMPUTE_PGM_RSRC2:TGID_Y_EN: 0
; COMPUTE_PGM_RSRC2:TGID_Z_EN: 0
; COMPUTE_PGM_RSRC2:TIDIG_COMP_CNT: 1
; COMPUTE_PGM_RSRC3_GFX90A:ACCUM_OFFSET: 13
; COMPUTE_PGM_RSRC3_GFX90A:TG_SPLIT: 0
	.text
	.p2alignl 6, 3212836864
	.fill 256, 4, 3212836864
	.type	__hip_cuid_7c31494ee1f35f5f,@object ; @__hip_cuid_7c31494ee1f35f5f
	.section	.bss,"aw",@nobits
	.globl	__hip_cuid_7c31494ee1f35f5f
__hip_cuid_7c31494ee1f35f5f:
	.byte	0                               ; 0x0
	.size	__hip_cuid_7c31494ee1f35f5f, 1

	.ident	"AMD clang version 19.0.0git (https://github.com/RadeonOpenCompute/llvm-project roc-6.4.0 25133 c7fe45cf4b819c5991fe208aaa96edf142730f1d)"
	.section	".note.GNU-stack","",@progbits
	.addrsig
	.addrsig_sym __hip_cuid_7c31494ee1f35f5f
	.amdgpu_metadata
---
amdhsa.kernels:
  - .agpr_count:     0
    .args:
      - .address_space:  global
        .offset:         0
        .size:           8
        .value_kind:     global_buffer
      - .address_space:  global
        .offset:         8
        .size:           8
        .value_kind:     global_buffer
      - .address_space:  global
        .offset:         16
        .size:           8
        .value_kind:     global_buffer
    .group_segment_fixed_size: 0
    .kernarg_segment_align: 8
    .kernarg_segment_size: 24
    .language:       OpenCL C
    .language_version:
      - 2
      - 0
    .max_flat_workgroup_size: 1024
    .name:           _Z20sgemm_32x32x32_batchPKDF16_S0_Pf
    .private_segment_fixed_size: 0
    .sgpr_count:     12
    .sgpr_spill_count: 0
    .symbol:         _Z20sgemm_32x32x32_batchPKDF16_S0_Pf.kd
    .uniform_work_group_size: 1
    .uses_dynamic_stack: false
    .vgpr_count:     56
    .vgpr_spill_count: 0
    .wavefront_size: 64
amdhsa.target:   amdgcn-amd-amdhsa--gfx90a
amdhsa.version:
  - 1
  - 2
...

	.end_amdgpu_metadata
